;; amdgpu-corpus repo=ROCm/rocFFT kind=compiled arch=gfx950 opt=O3
	.text
	.amdgcn_target "amdgcn-amd-amdhsa--gfx950"
	.amdhsa_code_object_version 6
	.protected	fft_rtc_fwd_len780_factors_2_3_13_5_2_wgs_234_tpt_78_halfLds_dp_ip_CI_unitstride_sbrr_R2C_dirReg ; -- Begin function fft_rtc_fwd_len780_factors_2_3_13_5_2_wgs_234_tpt_78_halfLds_dp_ip_CI_unitstride_sbrr_R2C_dirReg
	.globl	fft_rtc_fwd_len780_factors_2_3_13_5_2_wgs_234_tpt_78_halfLds_dp_ip_CI_unitstride_sbrr_R2C_dirReg
	.p2align	8
	.type	fft_rtc_fwd_len780_factors_2_3_13_5_2_wgs_234_tpt_78_halfLds_dp_ip_CI_unitstride_sbrr_R2C_dirReg,@function
fft_rtc_fwd_len780_factors_2_3_13_5_2_wgs_234_tpt_78_halfLds_dp_ip_CI_unitstride_sbrr_R2C_dirReg: ; @fft_rtc_fwd_len780_factors_2_3_13_5_2_wgs_234_tpt_78_halfLds_dp_ip_CI_unitstride_sbrr_R2C_dirReg
; %bb.0:
	s_load_dwordx2 s[8:9], s[0:1], 0x50
	s_load_dwordx4 s[4:7], s[0:1], 0x0
	s_load_dwordx2 s[10:11], s[0:1], 0x18
	v_mul_u32_u24_e32 v1, 0x349, v0
	v_lshrrev_b32_e32 v2, 16, v1
	v_mad_u64_u32 v[2:3], s[2:3], s2, 3, v[2:3]
	v_mov_b32_e32 v6, 0
	v_mov_b32_e32 v3, v6
	s_waitcnt lgkmcnt(0)
	v_cmp_lt_u64_e64 s[2:3], s[6:7], 2
	s_and_b64 vcc, exec, s[2:3]
	v_mov_b64_e32 v[4:5], 0
	v_mov_b64_e32 v[10:11], v[2:3]
	s_cbranch_vccnz .LBB0_8
; %bb.1:
	s_load_dwordx2 s[2:3], s[0:1], 0x10
	s_add_u32 s12, s10, 8
	s_addc_u32 s13, s11, 0
	s_mov_b64 s[14:15], 1
	v_mov_b64_e32 v[4:5], 0
	s_waitcnt lgkmcnt(0)
	s_add_u32 s16, s2, 8
	s_addc_u32 s17, s3, 0
	v_mov_b64_e32 v[8:9], v[2:3]
.LBB0_2:                                ; =>This Inner Loop Header: Depth=1
	s_load_dwordx2 s[18:19], s[16:17], 0x0
                                        ; implicit-def: $vgpr10_vgpr11
	s_waitcnt lgkmcnt(0)
	v_or_b32_e32 v7, s19, v9
	v_cmp_ne_u64_e32 vcc, 0, v[6:7]
	s_and_saveexec_b64 s[2:3], vcc
	s_xor_b64 s[20:21], exec, s[2:3]
	s_cbranch_execz .LBB0_4
; %bb.3:                                ;   in Loop: Header=BB0_2 Depth=1
	v_cvt_f32_u32_e32 v1, s18
	v_cvt_f32_u32_e32 v3, s19
	s_sub_u32 s2, 0, s18
	s_subb_u32 s3, 0, s19
	v_fmac_f32_e32 v1, 0x4f800000, v3
	v_rcp_f32_e32 v1, v1
	s_nop 0
	v_mul_f32_e32 v1, 0x5f7ffffc, v1
	v_mul_f32_e32 v3, 0x2f800000, v1
	v_trunc_f32_e32 v3, v3
	v_fmac_f32_e32 v1, 0xcf800000, v3
	v_cvt_u32_f32_e32 v3, v3
	v_cvt_u32_f32_e32 v1, v1
	v_mul_lo_u32 v7, s2, v3
	v_mul_hi_u32 v10, s2, v1
	v_mul_lo_u32 v11, s3, v1
	v_add_u32_e32 v7, v10, v7
	v_mul_lo_u32 v14, s2, v1
	v_add_u32_e32 v7, v7, v11
	v_mul_hi_u32 v10, v1, v14
	v_mul_hi_u32 v13, v1, v7
	v_mul_lo_u32 v12, v1, v7
	v_mov_b32_e32 v11, v6
	v_lshl_add_u64 v[10:11], v[10:11], 0, v[12:13]
	v_mul_hi_u32 v13, v3, v14
	v_mul_lo_u32 v14, v3, v14
	v_add_co_u32_e32 v10, vcc, v10, v14
	v_mul_hi_u32 v12, v3, v7
	s_nop 0
	v_addc_co_u32_e32 v10, vcc, v11, v13, vcc
	v_mov_b32_e32 v11, v6
	s_nop 0
	v_addc_co_u32_e32 v13, vcc, 0, v12, vcc
	v_mul_lo_u32 v12, v3, v7
	v_lshl_add_u64 v[10:11], v[10:11], 0, v[12:13]
	v_add_co_u32_e32 v1, vcc, v1, v10
	v_mul_hi_u32 v10, s2, v1
	s_nop 0
	v_addc_co_u32_e32 v3, vcc, v3, v11, vcc
	v_mul_lo_u32 v7, s2, v3
	v_add_u32_e32 v7, v10, v7
	v_mul_lo_u32 v10, s3, v1
	v_add_u32_e32 v7, v7, v10
	v_mul_lo_u32 v12, s2, v1
	v_mul_hi_u32 v15, v3, v12
	v_mul_lo_u32 v16, v3, v12
	v_mul_hi_u32 v11, v1, v7
	;; [unrolled: 2-line block ×3, first 2 shown]
	v_mov_b32_e32 v13, v6
	v_lshl_add_u64 v[10:11], v[12:13], 0, v[10:11]
	v_add_co_u32_e32 v10, vcc, v10, v16
	v_mul_hi_u32 v14, v3, v7
	s_nop 0
	v_addc_co_u32_e32 v10, vcc, v11, v15, vcc
	v_mul_lo_u32 v12, v3, v7
	s_nop 0
	v_addc_co_u32_e32 v13, vcc, 0, v14, vcc
	v_mov_b32_e32 v11, v6
	v_lshl_add_u64 v[10:11], v[10:11], 0, v[12:13]
	v_add_co_u32_e32 v1, vcc, v1, v10
	v_mul_hi_u32 v12, v8, v1
	s_nop 0
	v_addc_co_u32_e32 v3, vcc, v3, v11, vcc
	v_mad_u64_u32 v[10:11], s[2:3], v8, v3, 0
	v_mov_b32_e32 v13, v6
	v_lshl_add_u64 v[10:11], v[12:13], 0, v[10:11]
	v_mad_u64_u32 v[14:15], s[2:3], v9, v1, 0
	v_add_co_u32_e32 v1, vcc, v10, v14
	v_mad_u64_u32 v[12:13], s[2:3], v9, v3, 0
	s_nop 0
	v_addc_co_u32_e32 v10, vcc, v11, v15, vcc
	v_mov_b32_e32 v11, v6
	s_nop 0
	v_addc_co_u32_e32 v13, vcc, 0, v13, vcc
	v_lshl_add_u64 v[10:11], v[10:11], 0, v[12:13]
	v_mul_lo_u32 v1, s19, v10
	v_mul_lo_u32 v3, s18, v11
	v_mad_u64_u32 v[12:13], s[2:3], s18, v10, 0
	v_add3_u32 v1, v13, v3, v1
	v_sub_u32_e32 v3, v9, v1
	v_mov_b32_e32 v7, s19
	v_sub_co_u32_e32 v16, vcc, v8, v12
	v_lshl_add_u64 v[14:15], v[10:11], 0, 1
	s_nop 0
	v_subb_co_u32_e64 v3, s[2:3], v3, v7, vcc
	v_subrev_co_u32_e64 v7, s[2:3], s18, v16
	v_subb_co_u32_e32 v1, vcc, v9, v1, vcc
	s_nop 0
	v_subbrev_co_u32_e64 v3, s[2:3], 0, v3, s[2:3]
	v_cmp_le_u32_e64 s[2:3], s19, v3
	v_cmp_le_u32_e32 vcc, s19, v1
	s_nop 0
	v_cndmask_b32_e64 v12, 0, -1, s[2:3]
	v_cmp_le_u32_e64 s[2:3], s18, v7
	s_nop 1
	v_cndmask_b32_e64 v7, 0, -1, s[2:3]
	v_cmp_eq_u32_e64 s[2:3], s19, v3
	s_nop 1
	v_cndmask_b32_e64 v3, v12, v7, s[2:3]
	v_lshl_add_u64 v[12:13], v[10:11], 0, 2
	v_cmp_ne_u32_e64 s[2:3], 0, v3
	v_cndmask_b32_e64 v7, 0, -1, vcc
	v_cmp_le_u32_e32 vcc, s18, v16
	v_cndmask_b32_e64 v3, v15, v13, s[2:3]
	s_nop 0
	v_cndmask_b32_e64 v13, 0, -1, vcc
	v_cmp_eq_u32_e32 vcc, s19, v1
	s_nop 1
	v_cndmask_b32_e32 v1, v7, v13, vcc
	v_cmp_ne_u32_e32 vcc, 0, v1
	v_cndmask_b32_e64 v1, v14, v12, s[2:3]
	s_nop 0
	v_cndmask_b32_e32 v11, v11, v3, vcc
	v_cndmask_b32_e32 v10, v10, v1, vcc
.LBB0_4:                                ;   in Loop: Header=BB0_2 Depth=1
	s_andn2_saveexec_b64 s[2:3], s[20:21]
	s_cbranch_execz .LBB0_6
; %bb.5:                                ;   in Loop: Header=BB0_2 Depth=1
	v_cvt_f32_u32_e32 v1, s18
	s_sub_i32 s20, 0, s18
	v_mov_b32_e32 v11, v6
	v_rcp_iflag_f32_e32 v1, v1
	s_nop 0
	v_mul_f32_e32 v1, 0x4f7ffffe, v1
	v_cvt_u32_f32_e32 v1, v1
	v_mul_lo_u32 v3, s20, v1
	v_mul_hi_u32 v3, v1, v3
	v_add_u32_e32 v1, v1, v3
	v_mul_hi_u32 v1, v8, v1
	v_mul_lo_u32 v3, v1, s18
	v_sub_u32_e32 v3, v8, v3
	v_add_u32_e32 v7, 1, v1
	v_subrev_u32_e32 v10, s18, v3
	v_cmp_le_u32_e32 vcc, s18, v3
	s_nop 1
	v_cndmask_b32_e32 v3, v3, v10, vcc
	v_cndmask_b32_e32 v1, v1, v7, vcc
	v_add_u32_e32 v7, 1, v1
	v_cmp_le_u32_e32 vcc, s18, v3
	s_nop 1
	v_cndmask_b32_e32 v10, v1, v7, vcc
.LBB0_6:                                ;   in Loop: Header=BB0_2 Depth=1
	s_or_b64 exec, exec, s[2:3]
	v_mad_u64_u32 v[12:13], s[2:3], v10, s18, 0
	s_load_dwordx2 s[2:3], s[12:13], 0x0
	s_add_u32 s14, s14, 1
	v_mul_lo_u32 v1, v11, s18
	v_mul_lo_u32 v3, v10, s19
	s_addc_u32 s15, s15, 0
	v_add3_u32 v1, v13, v3, v1
	v_sub_co_u32_e32 v3, vcc, v8, v12
	s_add_u32 s12, s12, 8
	s_nop 0
	v_subb_co_u32_e32 v1, vcc, v9, v1, vcc
	s_addc_u32 s13, s13, 0
	v_mov_b64_e32 v[8:9], s[6:7]
	s_waitcnt lgkmcnt(0)
	v_mul_lo_u32 v1, s2, v1
	v_mul_lo_u32 v7, s3, v3
	v_mad_u64_u32 v[4:5], s[2:3], s2, v3, v[4:5]
	s_add_u32 s16, s16, 8
	v_cmp_ge_u64_e32 vcc, s[14:15], v[8:9]
	v_add3_u32 v5, v7, v5, v1
	s_addc_u32 s17, s17, 0
	s_cbranch_vccnz .LBB0_8
; %bb.7:                                ;   in Loop: Header=BB0_2 Depth=1
	v_mov_b64_e32 v[8:9], v[10:11]
	s_branch .LBB0_2
.LBB0_8:
	s_lshl_b64 s[2:3], s[6:7], 3
	s_add_u32 s2, s10, s2
	s_addc_u32 s3, s11, s3
	s_load_dwordx2 s[6:7], s[2:3], 0x0
	s_load_dwordx2 s[10:11], s[0:1], 0x20
	s_mov_b32 s2, 0x3483484
                                        ; implicit-def: $vgpr70
                                        ; implicit-def: $vgpr68
                                        ; implicit-def: $vgpr66
                                        ; implicit-def: $vgpr64
	s_waitcnt lgkmcnt(0)
	v_mad_u64_u32 v[4:5], s[0:1], s6, v10, v[4:5]
	v_mul_lo_u32 v1, s6, v11
	v_mul_lo_u32 v3, s7, v10
	s_mov_b32 s0, 0xaaaaaaab
	v_add3_u32 v5, v3, v5, v1
	v_mul_hi_u32 v1, v2, s0
	v_lshrrev_b32_e32 v1, 1, v1
	v_lshl_add_u32 v1, v1, 1, v1
	v_sub_u32_e32 v1, v2, v1
	v_mul_hi_u32 v2, v0, s2
	v_mul_u32_u24_e32 v2, 0x4e, v2
	v_cmp_gt_u64_e64 s[0:1], s[10:11], v[10:11]
	v_cmp_le_u64_e32 vcc, s[10:11], v[10:11]
	v_sub_u32_e32 v60, v0, v2
	s_and_saveexec_b64 s[2:3], vcc
	s_xor_b64 s[2:3], exec, s[2:3]
; %bb.9:
	v_add_u32_e32 v70, 0x4e, v60
	v_add_u32_e32 v68, 0x9c, v60
	;; [unrolled: 1-line block ×4, first 2 shown]
; %bb.10:
	s_or_saveexec_b64 s[2:3], s[2:3]
	v_mul_u32_u24_e32 v40, 0x30d, v1
	v_lshl_add_u64 v[62:63], v[4:5], 4, s[8:9]
	v_lshlrev_b32_e32 v65, 4, v40
	v_lshlrev_b32_e32 v146, 4, v60
	s_xor_b64 exec, exec, s[2:3]
	s_cbranch_execz .LBB0_12
; %bb.11:
	v_mov_b32_e32 v61, 0
	v_lshl_add_u64 v[24:25], v[60:61], 4, v[62:63]
	s_movk_i32 s6, 0x1000
	v_add_co_u32_e32 v42, vcc, s6, v24
	global_load_dwordx4 v[0:3], v[24:25], off
	global_load_dwordx4 v[4:7], v[24:25], off offset:1248
	global_load_dwordx4 v[8:11], v[24:25], off offset:2496
	;; [unrolled: 1-line block ×3, first 2 shown]
	v_addc_co_u32_e32 v43, vcc, 0, v25, vcc
	v_add_co_u32_e32 v44, vcc, 0x2000, v24
	global_load_dwordx4 v[16:19], v[42:43], off offset:896
	global_load_dwordx4 v[20:23], v[42:43], off offset:2144
	v_addc_co_u32_e32 v45, vcc, 0, v25, vcc
	global_load_dwordx4 v[24:27], v[42:43], off offset:3392
	global_load_dwordx4 v[28:31], v[44:45], off offset:544
	global_load_dwordx4 v[32:35], v[44:45], off offset:1792
	global_load_dwordx4 v[36:39], v[44:45], off offset:3040
	v_add3_u32 v41, 0, v65, v146
	v_add_u32_e32 v70, 0x4e, v60
	v_add_u32_e32 v68, 0x9c, v60
	;; [unrolled: 1-line block ×4, first 2 shown]
	s_waitcnt vmcnt(9)
	ds_write_b128 v41, v[0:3]
	s_waitcnt vmcnt(8)
	ds_write_b128 v41, v[4:7] offset:1248
	s_waitcnt vmcnt(7)
	ds_write_b128 v41, v[8:11] offset:2496
	;; [unrolled: 2-line block ×9, first 2 shown]
.LBB0_12:
	s_or_b64 exec, exec, s[2:3]
	v_add_u32_e32 v145, 0, v65
	v_add3_u32 v147, 0, v146, v65
	s_waitcnt lgkmcnt(0)
	s_barrier
	v_add_u32_e32 v144, v145, v146
	ds_read_b128 v[0:3], v147 offset:6240
	ds_read_b128 v[4:7], v144
	ds_read_b128 v[8:11], v147 offset:1248
	ds_read_b128 v[12:15], v147 offset:7488
	;; [unrolled: 1-line block ×8, first 2 shown]
	s_waitcnt lgkmcnt(8)
	v_add_f64 v[0:1], v[4:5], -v[0:1]
	v_add_f64 v[2:3], v[6:7], -v[2:3]
	s_waitcnt lgkmcnt(6)
	v_add_f64 v[12:13], v[8:9], -v[12:13]
	v_fma_f64 v[4:5], v[4:5], 2.0, -v[0:1]
	v_fma_f64 v[6:7], v[6:7], 2.0, -v[2:3]
	v_add_f64 v[14:15], v[10:11], -v[14:15]
	v_fma_f64 v[42:43], v[8:9], 2.0, -v[12:13]
	s_waitcnt lgkmcnt(0)
	v_add_f64 v[8:9], v[28:29], -v[36:37]
	v_add_u32_e32 v36, v147, v146
	v_fma_f64 v[44:45], v[10:11], 2.0, -v[14:15]
	v_add_f64 v[16:17], v[20:21], -v[16:17]
	v_add_f64 v[18:19], v[22:23], -v[18:19]
	;; [unrolled: 1-line block ×4, first 2 shown]
	s_barrier
	ds_write_b128 v36, v[4:7]
	ds_write_b128 v36, v[0:3] offset:16
	v_lshl_add_u32 v0, v70, 5, v145
	v_lshl_add_u32 v41, v66, 5, 0
	v_fma_f64 v[20:21], v[20:21], 2.0, -v[16:17]
	v_fma_f64 v[22:23], v[22:23], 2.0, -v[18:19]
	;; [unrolled: 1-line block ×4, first 2 shown]
	v_add_f64 v[10:11], v[30:31], -v[38:39]
	ds_write_b128 v0, v[42:45]
	ds_write_b128 v0, v[12:15] offset:16
	v_lshl_add_u32 v12, v68, 5, v145
	v_add_u32_e32 v1, v41, v65
	v_fma_f64 v[28:29], v[28:29], 2.0, -v[8:9]
	v_fma_f64 v[30:31], v[30:31], 2.0, -v[10:11]
	ds_write_b128 v12, v[20:23]
	ds_write_b128 v12, v[16:19] offset:16
	ds_write_b128 v1, v[24:27]
	ds_write_b128 v1, v[32:35] offset:16
	v_lshl_add_u32 v1, v64, 5, v145
	v_lshlrev_b32_e32 v13, 4, v68
	ds_write_b128 v1, v[28:31]
	ds_write_b128 v1, v[8:11] offset:16
	v_lshlrev_b32_e32 v1, 4, v70
	v_sub_u32_e32 v148, v12, v13
	s_waitcnt lgkmcnt(0)
	s_barrier
	ds_read_b128 v[4:7], v144
	ds_read_b128 v[24:27], v147 offset:4160
	v_sub_u32_e32 v149, v0, v1
	ds_read_b128 v[0:3], v147 offset:8320
	ds_read_b128 v[20:23], v147 offset:9568
	ds_read_b128 v[16:19], v148
	ds_read_b128 v[36:39], v147 offset:5408
	ds_read_b128 v[32:35], v147 offset:6656
	ds_read_b128 v[12:15], v149
	ds_read_b128 v[28:31], v147 offset:10816
	v_cmp_gt_u32_e32 vcc, 26, v60
	v_lshlrev_b32_e32 v61, 4, v66
                                        ; implicit-def: $vgpr46_vgpr47
                                        ; implicit-def: $vgpr42_vgpr43
	s_and_saveexec_b64 s[2:3], vcc
	s_cbranch_execz .LBB0_14
; %bb.13:
	v_sub_u32_e32 v8, v41, v61
	v_lshl_add_u32 v8, v40, 4, v8
	ds_read_b128 v[8:11], v8
	ds_read_b128 v[40:43], v147 offset:7904
	ds_read_b128 v[44:47], v147 offset:12064
.LBB0_14:
	s_or_b64 exec, exec, s[2:3]
	v_and_b32_e32 v48, 1, v60
	v_lshlrev_b32_e32 v49, 5, v48
	global_load_dwordx4 v[50:53], v49, s[4:5]
	global_load_dwordx4 v[54:57], v49, s[4:5] offset:16
	v_lshrrev_b32_e32 v49, 1, v60
	v_mul_u32_u24_e32 v49, 6, v49
	v_or_b32_e32 v49, v49, v48
	s_mov_b32 s2, 0xe8584caa
	v_lshlrev_b32_e32 v49, 4, v49
	s_mov_b32 s3, 0x3febb67a
	s_mov_b32 s7, 0xbfebb67a
	;; [unrolled: 1-line block ×3, first 2 shown]
	v_add3_u32 v49, 0, v49, v65
	s_waitcnt lgkmcnt(0)
	s_barrier
	s_waitcnt vmcnt(1)
	v_mul_f64 v[58:59], v[26:27], v[52:53]
	v_mul_f64 v[72:73], v[24:25], v[52:53]
	s_waitcnt vmcnt(0)
	v_mul_f64 v[84:85], v[2:3], v[56:57]
	v_mul_f64 v[86:87], v[0:1], v[56:57]
	;; [unrolled: 1-line block ×7, first 2 shown]
	v_fma_f64 v[24:25], v[24:25], v[50:51], -v[58:59]
	v_fmac_f64_e32 v[72:73], v[26:27], v[50:51]
	v_fma_f64 v[0:1], v[0:1], v[54:55], -v[84:85]
	v_fmac_f64_e32 v[86:87], v[2:3], v[54:55]
	v_mul_f64 v[82:83], v[42:43], v[52:53]
	v_mul_f64 v[52:53], v[40:41], v[52:53]
	;; [unrolled: 1-line block ×6, first 2 shown]
	v_fma_f64 v[26:27], v[36:37], v[50:51], -v[74:75]
	v_fmac_f64_e32 v[76:77], v[38:39], v[50:51]
	v_fma_f64 v[32:33], v[32:33], v[50:51], -v[78:79]
	v_fmac_f64_e32 v[80:81], v[34:35], v[50:51]
	v_fmac_f64_e32 v[94:95], v[30:31], v[54:55]
	v_add_f64 v[2:3], v[6:7], v[72:73]
	v_add_f64 v[30:31], v[72:73], v[86:87]
	;; [unrolled: 1-line block ×4, first 2 shown]
	v_mul_f64 v[56:57], v[44:45], v[56:57]
	v_fma_f64 v[58:59], v[40:41], v[50:51], -v[82:83]
	v_fmac_f64_e32 v[52:53], v[42:43], v[50:51]
	v_fma_f64 v[20:21], v[20:21], v[54:55], -v[88:89]
	v_fmac_f64_e32 v[90:91], v[22:23], v[54:55]
	v_fma_f64 v[22:23], v[28:29], v[54:55], -v[92:93]
	v_fma_f64 v[50:51], v[44:45], v[54:55], -v[96:97]
	v_add_f64 v[28:29], v[72:73], -v[86:87]
	v_add_f64 v[38:39], v[24:25], -v[0:1]
	v_add_f64 v[24:25], v[14:15], v[76:77]
	v_add_f64 v[44:45], v[12:13], v[26:27]
	;; [unrolled: 1-line block ×5, first 2 shown]
	v_fmac_f64_e32 v[4:5], -0.5, v[36:37]
	v_fmac_f64_e32 v[6:7], -0.5, v[30:31]
	v_fmac_f64_e32 v[56:57], v[46:47], v[54:55]
	v_add_f64 v[40:41], v[76:77], -v[90:91]
	v_add_f64 v[42:43], v[76:77], v[90:91]
	v_add_f64 v[46:47], v[26:27], v[20:21]
	v_add_f64 v[54:55], v[26:27], -v[20:21]
	v_add_f64 v[72:73], v[80:81], -v[94:95]
	v_add_f64 v[74:75], v[18:19], v[80:81]
	v_add_f64 v[76:77], v[80:81], v[94:95]
	;; [unrolled: 1-line block ×3, first 2 shown]
	v_add_f64 v[82:83], v[32:33], -v[22:23]
	v_add_f64 v[26:27], v[24:25], v[90:91]
	v_add_f64 v[24:25], v[44:45], v[20:21]
	v_add_f64 v[32:33], v[78:79], v[22:23]
	v_fma_f64 v[20:21], s[2:3], v[28:29], v[4:5]
	v_fmac_f64_e32 v[4:5], s[6:7], v[28:29]
	v_fma_f64 v[22:23], s[6:7], v[38:39], v[6:7]
	v_fmac_f64_e32 v[6:7], s[2:3], v[38:39]
	ds_write_b128 v49, v[0:3]
	ds_write_b128 v49, v[20:23] offset:32
	ds_write_b128 v49, v[4:7] offset:64
	v_lshrrev_b32_e32 v49, 1, v70
	v_mul_lo_u32 v49, v49, 6
	v_or_b32_e32 v49, v49, v48
	v_lshlrev_b32_e32 v49, 4, v49
	v_fmac_f64_e32 v[12:13], -0.5, v[46:47]
	v_fmac_f64_e32 v[14:15], -0.5, v[42:43]
	v_add3_u32 v49, 0, v49, v65
	v_fma_f64 v[28:29], s[2:3], v[40:41], v[12:13]
	v_fmac_f64_e32 v[12:13], s[6:7], v[40:41]
	v_fma_f64 v[30:31], s[6:7], v[54:55], v[14:15]
	v_fmac_f64_e32 v[14:15], s[2:3], v[54:55]
	ds_write_b128 v49, v[24:27]
	ds_write_b128 v49, v[28:31] offset:32
	ds_write_b128 v49, v[12:15] offset:64
	v_lshrrev_b32_e32 v49, 1, v68
	v_mul_lo_u32 v49, v49, 6
	v_add_f64 v[84:85], v[8:9], v[58:59]
	v_add_f64 v[88:89], v[58:59], v[50:51]
	;; [unrolled: 1-line block ×3, first 2 shown]
	v_or_b32_e32 v49, v49, v48
	v_add_f64 v[92:93], v[52:53], -v[56:57]
	v_fmac_f64_e32 v[16:17], -0.5, v[80:81]
	v_fmac_f64_e32 v[18:19], -0.5, v[76:77]
	;; [unrolled: 1-line block ×3, first 2 shown]
	v_add_f64 v[40:41], v[84:85], v[50:51]
	v_add_f64 v[42:43], v[10:11], v[52:53]
	v_fmac_f64_e32 v[10:11], -0.5, v[46:47]
	v_add_f64 v[50:51], v[58:59], -v[50:51]
	v_lshlrev_b32_e32 v49, 4, v49
	v_add_f64 v[34:35], v[74:75], v[94:95]
	v_fma_f64 v[36:37], s[2:3], v[72:73], v[16:17]
	v_fmac_f64_e32 v[16:17], s[6:7], v[72:73]
	v_fma_f64 v[38:39], s[6:7], v[82:83], v[18:19]
	v_fmac_f64_e32 v[18:19], s[2:3], v[82:83]
	;; [unrolled: 2-line block ×3, first 2 shown]
	v_add_f64 v[42:43], v[42:43], v[56:57]
	v_fma_f64 v[46:47], s[6:7], v[50:51], v[10:11]
	v_fmac_f64_e32 v[10:11], s[2:3], v[50:51]
	v_add3_u32 v49, 0, v49, v65
	ds_write_b128 v49, v[32:35]
	ds_write_b128 v49, v[36:39] offset:32
	ds_write_b128 v49, v[16:19] offset:64
	s_and_saveexec_b64 s[2:3], vcc
	s_cbranch_execz .LBB0_16
; %bb.15:
	v_lshrrev_b32_e32 v49, 1, v66
	v_mul_lo_u32 v49, v49, 6
	v_or_b32_e32 v48, v49, v48
	v_lshlrev_b32_e32 v48, 4, v48
	v_add3_u32 v48, 0, v48, v65
	ds_write_b128 v48, v[40:43]
	ds_write_b128 v48, v[44:47] offset:32
	ds_write_b128 v48, v[8:11] offset:64
.LBB0_16:
	s_or_b64 exec, exec, s[2:3]
	v_cmp_gt_u32_e32 vcc, 60, v60
	s_waitcnt lgkmcnt(0)
	s_barrier
	s_waitcnt lgkmcnt(0)
                                        ; implicit-def: $vgpr50_vgpr51
	s_and_saveexec_b64 s[2:3], vcc
	s_cbranch_execz .LBB0_18
; %bb.17:
	ds_read_b128 v[0:3], v144
	ds_read_b128 v[20:23], v147 offset:960
	ds_read_b128 v[4:7], v147 offset:1920
	;; [unrolled: 1-line block ×12, first 2 shown]
.LBB0_18:
	s_or_b64 exec, exec, s[2:3]
	s_waitcnt lgkmcnt(0)
	s_barrier
	s_and_saveexec_b64 s[2:3], vcc
	s_cbranch_execz .LBB0_20
; %bb.19:
	s_movk_i32 s6, 0xab
	v_mul_lo_u16_sdwa v52, v60, s6 dst_sel:DWORD dst_unused:UNUSED_PAD src0_sel:BYTE_0 src1_sel:DWORD
	v_lshrrev_b16_e32 v67, 10, v52
	v_mul_lo_u16_e32 v52, 6, v67
	v_sub_u16_e32 v69, v60, v52
	v_mov_b32_e32 v52, 12
	v_mul_u32_u24_sdwa v52, v69, v52 dst_sel:DWORD dst_unused:UNUSED_PAD src0_sel:BYTE_0 src1_sel:DWORD
	v_lshlrev_b32_e32 v71, 4, v52
	global_load_dwordx4 v[56:59], v71, s[4:5] offset:144
	global_load_dwordx4 v[52:55], v71, s[4:5] offset:160
	;; [unrolled: 1-line block ×12, first 2 shown]
	s_mov_b32 s12, 0x93053d00
	s_mov_b32 s6, 0xe00740e9
	;; [unrolled: 1-line block ×36, first 2 shown]
	s_waitcnt vmcnt(11)
	v_mul_f64 v[72:73], v[32:33], v[58:59]
	v_mul_f64 v[130:131], v[34:35], v[58:59]
	s_waitcnt vmcnt(10)
	v_mul_f64 v[58:59], v[36:37], v[54:55]
	v_mul_f64 v[132:133], v[38:39], v[54:55]
	;; [unrolled: 3-line block ×3, first 2 shown]
	s_waitcnt vmcnt(6)
	v_mul_f64 v[76:77], v[40:41], v[104:105]
	s_waitcnt vmcnt(4)
	v_mul_f64 v[80:81], v[44:45], v[112:113]
	v_mul_f64 v[112:113], v[46:47], v[112:113]
	s_waitcnt vmcnt(3)
	v_mul_f64 v[88:89], v[4:5], v[116:117]
	s_waitcnt vmcnt(1)
	;; [unrolled: 2-line block ×3, first 2 shown]
	v_mul_f64 v[84:85], v[48:49], v[128:129]
	v_mul_f64 v[82:83], v[8:9], v[120:121]
	;; [unrolled: 1-line block ×4, first 2 shown]
	v_fmac_f64_e32 v[96:97], v[22:23], v[122:123]
	v_fmac_f64_e32 v[84:85], v[50:51], v[126:127]
	v_mul_f64 v[74:75], v[12:13], v[92:93]
	v_mul_f64 v[92:93], v[14:15], v[92:93]
	;; [unrolled: 1-line block ×9, first 2 shown]
	v_fmac_f64_e32 v[76:77], v[42:43], v[102:103]
	v_fmac_f64_e32 v[80:81], v[46:47], v[110:111]
	v_fma_f64 v[42:43], v[44:45], v[110:111], -v[112:113]
	v_fmac_f64_e32 v[88:89], v[6:7], v[114:115]
	v_fmac_f64_e32 v[82:83], v[10:11], v[118:119]
	v_fma_f64 v[50:51], v[20:21], v[122:123], -v[124:125]
	v_fma_f64 v[46:47], v[48:49], v[126:127], -v[128:129]
	v_add_f64 v[110:111], v[96:97], v[84:85]
	v_fmac_f64_e32 v[58:59], v[38:39], v[52:53]
	v_fma_f64 v[36:37], v[36:37], v[52:53], -v[132:133]
	v_fmac_f64_e32 v[74:75], v[14:15], v[90:91]
	v_fma_f64 v[52:53], v[12:13], v[90:91], -v[92:93]
	;; [unrolled: 2-line block ×5, first 2 shown]
	v_fma_f64 v[94:95], v[4:5], v[114:115], -v[116:117]
	v_fma_f64 v[44:45], v[8:9], v[118:119], -v[120:121]
	v_add_f64 v[108:109], v[88:89], v[82:83]
	v_add_f64 v[98:99], v[50:51], -v[46:47]
	v_mul_f64 v[10:11], v[110:111], s[12:13]
	v_add_f64 v[106:107], v[86:87], v[80:81]
	v_add_f64 v[48:49], v[94:95], -v[44:45]
	v_mul_f64 v[8:9], v[108:109], s[6:7]
	v_fma_f64 v[6:7], s[14:15], v[98:99], v[10:11]
	v_add_f64 v[100:101], v[92:93], -v[42:43]
	v_mul_f64 v[12:13], v[106:107], s[8:9]
	v_fma_f64 v[4:5], s[10:11], v[48:49], v[8:9]
	v_add_f64 v[6:7], v[2:3], v[6:7]
	v_fma_f64 v[40:41], v[40:41], v[102:103], -v[104:105]
	v_fma_f64 v[14:15], s[16:17], v[100:101], v[12:13]
	v_add_f64 v[4:5], v[4:5], v[6:7]
	v_add_f64 v[116:117], v[78:79], v[76:77]
	;; [unrolled: 1-line block ×3, first 2 shown]
	v_mul_f64 v[14:15], v[116:117], s[18:19]
	v_add_f64 v[102:103], v[90:91], -v[40:41]
	v_add_f64 v[120:121], v[74:75], v[54:55]
	v_fma_f64 v[6:7], s[22:23], v[102:103], v[14:15]
	v_mul_f64 v[16:17], v[120:121], s[20:21]
	v_add_f64 v[104:105], v[52:53], -v[38:39]
	v_add_f64 v[128:129], v[96:97], -v[84:85]
	v_add_f64 v[4:5], v[6:7], v[4:5]
	v_fma_f64 v[6:7], s[24:25], v[104:105], v[16:17]
	v_add_f64 v[112:113], v[50:51], v[46:47]
	v_mul_f64 v[18:19], v[128:129], s[26:27]
	v_add_f64 v[132:133], v[88:89], -v[82:83]
	v_add_f64 v[4:5], v[6:7], v[4:5]
	v_fma_f64 v[6:7], s[12:13], v[112:113], v[18:19]
	v_add_f64 v[114:115], v[94:95], v[44:45]
	v_mul_f64 v[20:21], v[132:133], s[38:39]
	v_fmac_f64_e32 v[72:73], v[34:35], v[56:57]
	v_fma_f64 v[56:57], v[32:33], v[56:57], -v[130:131]
	v_add_f64 v[6:7], v[0:1], v[6:7]
	v_fma_f64 v[22:23], s[6:7], v[114:115], v[20:21]
	v_add_f64 v[130:131], v[86:87], -v[80:81]
	v_fmac_f64_e32 v[10:11], s[26:27], v[98:99]
	v_add_f64 v[6:7], v[22:23], v[6:7]
	v_add_f64 v[118:119], v[92:93], v[42:43]
	v_mul_f64 v[22:23], v[130:131], s[28:29]
	v_fmac_f64_e32 v[8:9], s[38:39], v[48:49]
	v_add_f64 v[10:11], v[2:3], v[10:11]
	v_fma_f64 v[24:25], s[8:9], v[118:119], v[22:23]
	v_add_f64 v[136:137], v[78:79], -v[76:77]
	v_add_f64 v[8:9], v[8:9], v[10:11]
	v_fmac_f64_e32 v[12:13], s[28:29], v[100:101]
	v_add_f64 v[6:7], v[24:25], v[6:7]
	v_add_f64 v[122:123], v[90:91], v[40:41]
	v_mul_f64 v[24:25], v[136:137], s[40:41]
	v_add_f64 v[8:9], v[12:13], v[8:9]
	v_fma_f64 v[12:13], v[112:113], s[12:13], -v[18:19]
	v_fma_f64 v[26:27], s[18:19], v[122:123], v[24:25]
	v_add_f64 v[138:139], v[74:75], -v[54:55]
	v_fma_f64 v[10:11], v[114:115], s[6:7], -v[20:21]
	v_add_f64 v[12:13], v[0:1], v[12:13]
	v_add_f64 v[6:7], v[26:27], v[6:7]
	;; [unrolled: 1-line block ×3, first 2 shown]
	v_mul_f64 v[26:27], v[138:139], s[34:35]
	v_add_f64 v[140:141], v[72:73], v[58:59]
	v_fmac_f64_e32 v[14:15], s[40:41], v[102:103]
	v_add_f64 v[10:11], v[10:11], v[12:13]
	v_fma_f64 v[12:13], v[118:119], s[8:9], -v[22:23]
	v_fma_f64 v[28:29], s[20:21], v[124:125], v[26:27]
	v_mul_f64 v[30:31], v[140:141], s[30:31]
	v_add_f64 v[134:135], v[56:57], -v[36:37]
	v_add_f64 v[142:143], v[72:73], -v[58:59]
	v_add_f64 v[8:9], v[14:15], v[8:9]
	v_fmac_f64_e32 v[16:17], s[34:35], v[104:105]
	v_add_f64 v[10:11], v[12:13], v[10:11]
	v_fma_f64 v[12:13], v[122:123], s[18:19], -v[24:25]
	v_add_f64 v[28:29], v[28:29], v[6:7]
	v_fma_f64 v[6:7], s[36:37], v[134:135], v[30:31]
	v_add_f64 v[126:127], v[56:57], v[36:37]
	v_mul_f64 v[32:33], v[142:143], s[42:43]
	v_add_f64 v[8:9], v[16:17], v[8:9]
	v_add_f64 v[10:11], v[12:13], v[10:11]
	v_fma_f64 v[12:13], v[124:125], s[20:21], -v[26:27]
	v_fmac_f64_e32 v[30:31], s[42:43], v[134:135]
	v_add_f64 v[12:13], v[12:13], v[10:11]
	v_add_f64 v[10:11], v[30:31], v[8:9]
	v_fma_f64 v[8:9], v[126:127], s[30:31], -v[32:33]
	v_mul_f64 v[16:17], v[110:111], s[8:9]
	v_add_f64 v[8:9], v[8:9], v[12:13]
	v_fma_f64 v[12:13], s[16:17], v[98:99], v[16:17]
	v_mul_f64 v[18:19], v[108:109], s[30:31]
	v_add_f64 v[12:13], v[2:3], v[12:13]
	v_fma_f64 v[14:15], s[36:37], v[48:49], v[18:19]
	v_mul_f64 v[20:21], v[106:107], s[18:19]
	v_add_f64 v[12:13], v[14:15], v[12:13]
	v_fma_f64 v[14:15], s[40:41], v[100:101], v[20:21]
	v_mul_f64 v[22:23], v[116:117], s[12:13]
	v_add_f64 v[12:13], v[14:15], v[12:13]
	v_fma_f64 v[14:15], s[26:27], v[102:103], v[22:23]
	v_mul_f64 v[24:25], v[120:121], s[6:7]
	v_add_f64 v[6:7], v[6:7], v[4:5]
	v_fma_f64 v[4:5], s[30:31], v[126:127], v[32:33]
	v_add_f64 v[12:13], v[14:15], v[12:13]
	v_fma_f64 v[14:15], s[10:11], v[104:105], v[24:25]
	v_mul_f64 v[26:27], v[128:129], s[28:29]
	v_add_f64 v[4:5], v[4:5], v[28:29]
	v_add_f64 v[12:13], v[14:15], v[12:13]
	v_fma_f64 v[14:15], s[8:9], v[112:113], v[26:27]
	v_mul_f64 v[28:29], v[132:133], s[42:43]
	v_add_f64 v[14:15], v[0:1], v[14:15]
	v_fma_f64 v[30:31], s[30:31], v[114:115], v[28:29]
	v_fmac_f64_e32 v[16:17], s[28:29], v[98:99]
	v_add_f64 v[14:15], v[30:31], v[14:15]
	v_mul_f64 v[30:31], v[130:131], s[22:23]
	v_fmac_f64_e32 v[18:19], s[42:43], v[48:49]
	v_add_f64 v[16:17], v[2:3], v[16:17]
	v_fma_f64 v[32:33], s[18:19], v[118:119], v[30:31]
	v_add_f64 v[16:17], v[18:19], v[16:17]
	v_fmac_f64_e32 v[20:21], s[22:23], v[100:101]
	v_add_f64 v[14:15], v[32:33], v[14:15]
	v_mul_f64 v[32:33], v[136:137], s[14:15]
	v_add_f64 v[16:17], v[20:21], v[16:17]
	v_fma_f64 v[20:21], v[112:113], s[8:9], -v[26:27]
	v_fma_f64 v[34:35], s[12:13], v[122:123], v[32:33]
	v_fma_f64 v[18:19], v[114:115], s[30:31], -v[28:29]
	v_add_f64 v[20:21], v[0:1], v[20:21]
	v_add_f64 v[14:15], v[34:35], v[14:15]
	v_mul_f64 v[34:35], v[138:139], s[38:39]
	v_fmac_f64_e32 v[22:23], s[14:15], v[102:103]
	v_add_f64 v[18:19], v[18:19], v[20:21]
	v_fma_f64 v[20:21], v[118:119], s[18:19], -v[30:31]
	v_fma_f64 v[150:151], s[6:7], v[124:125], v[34:35]
	v_mul_f64 v[152:153], v[140:141], s[20:21]
	v_add_f64 v[16:17], v[22:23], v[16:17]
	v_fmac_f64_e32 v[24:25], s[38:39], v[104:105]
	v_add_f64 v[18:19], v[20:21], v[18:19]
	v_fma_f64 v[20:21], v[122:123], s[12:13], -v[32:33]
	v_add_f64 v[150:151], v[150:151], v[14:15]
	v_fma_f64 v[14:15], s[24:25], v[134:135], v[152:153]
	v_mul_f64 v[154:155], v[142:143], s[34:35]
	v_add_f64 v[16:17], v[24:25], v[16:17]
	v_add_f64 v[18:19], v[20:21], v[18:19]
	v_fma_f64 v[20:21], v[124:125], s[6:7], -v[34:35]
	v_fmac_f64_e32 v[152:153], s[34:35], v[134:135]
	v_add_f64 v[20:21], v[20:21], v[18:19]
	v_add_f64 v[18:19], v[152:153], v[16:17]
	v_fma_f64 v[16:17], v[126:127], s[20:21], -v[154:155]
	v_mul_f64 v[24:25], v[110:111], s[20:21]
	v_add_f64 v[16:17], v[16:17], v[20:21]
	v_fma_f64 v[20:21], s[24:25], v[98:99], v[24:25]
	v_mul_f64 v[26:27], v[108:109], s[8:9]
	v_add_f64 v[20:21], v[2:3], v[20:21]
	v_fma_f64 v[22:23], s[28:29], v[48:49], v[26:27]
	v_mul_f64 v[28:29], v[106:107], s[6:7]
	v_add_f64 v[20:21], v[22:23], v[20:21]
	v_fma_f64 v[22:23], s[10:11], v[100:101], v[28:29]
	v_mul_f64 v[30:31], v[116:117], s[30:31]
	v_add_f64 v[20:21], v[22:23], v[20:21]
	v_fma_f64 v[22:23], s[42:43], v[102:103], v[30:31]
	v_mul_f64 v[32:33], v[120:121], s[12:13]
	v_add_f64 v[14:15], v[14:15], v[12:13]
	v_fma_f64 v[12:13], s[20:21], v[126:127], v[154:155]
	v_add_f64 v[20:21], v[22:23], v[20:21]
	v_fma_f64 v[22:23], s[26:27], v[104:105], v[32:33]
	v_mul_f64 v[34:35], v[128:129], s[34:35]
	v_add_f64 v[12:13], v[12:13], v[150:151]
	v_add_f64 v[20:21], v[22:23], v[20:21]
	v_fma_f64 v[22:23], s[20:21], v[112:113], v[34:35]
	v_mul_f64 v[150:151], v[132:133], s[16:17]
	v_add_f64 v[22:23], v[0:1], v[22:23]
	v_fma_f64 v[152:153], s[8:9], v[114:115], v[150:151]
	v_fmac_f64_e32 v[24:25], s[34:35], v[98:99]
	v_add_f64 v[22:23], v[152:153], v[22:23]
	v_mul_f64 v[152:153], v[130:131], s[38:39]
	v_fmac_f64_e32 v[26:27], s[16:17], v[48:49]
	v_add_f64 v[24:25], v[2:3], v[24:25]
	v_fma_f64 v[154:155], s[6:7], v[118:119], v[152:153]
	v_add_f64 v[24:25], v[26:27], v[24:25]
	v_fmac_f64_e32 v[28:29], s[38:39], v[100:101]
	v_add_f64 v[22:23], v[154:155], v[22:23]
	v_mul_f64 v[154:155], v[136:137], s[36:37]
	v_add_f64 v[24:25], v[28:29], v[24:25]
	v_fma_f64 v[28:29], v[112:113], s[20:21], -v[34:35]
	v_fma_f64 v[156:157], s[30:31], v[122:123], v[154:155]
	v_fma_f64 v[26:27], v[114:115], s[8:9], -v[150:151]
	v_add_f64 v[28:29], v[0:1], v[28:29]
	v_add_f64 v[22:23], v[156:157], v[22:23]
	v_mul_f64 v[156:157], v[138:139], s[14:15]
	v_fmac_f64_e32 v[30:31], s[36:37], v[102:103]
	v_add_f64 v[26:27], v[26:27], v[28:29]
	v_fma_f64 v[28:29], v[118:119], s[6:7], -v[152:153]
	v_fma_f64 v[158:159], s[12:13], v[124:125], v[156:157]
	v_mul_f64 v[160:161], v[140:141], s[18:19]
	v_add_f64 v[24:25], v[30:31], v[24:25]
	v_fmac_f64_e32 v[32:33], s[14:15], v[104:105]
	v_add_f64 v[26:27], v[28:29], v[26:27]
	v_fma_f64 v[28:29], v[122:123], s[30:31], -v[154:155]
	v_add_f64 v[158:159], v[158:159], v[22:23]
	v_fma_f64 v[22:23], s[22:23], v[134:135], v[160:161]
	;; [unrolled: 60-line block ×4, first 2 shown]
	v_mul_f64 v[178:179], v[142:143], s[38:39]
	v_add_f64 v[154:155], v[162:163], v[154:155]
	v_add_f64 v[156:157], v[158:159], v[156:157]
	v_fma_f64 v[158:159], v[124:125], s[30:31], -v[172:173]
	v_fmac_f64_e32 v[176:177], s[38:39], v[134:135]
	v_add_f64 v[158:159], v[158:159], v[156:157]
	v_add_f64 v[156:157], v[176:177], v[154:155]
	v_fma_f64 v[154:155], v[126:127], s[6:7], -v[178:179]
	v_mul_f64 v[110:111], v[110:111], s[6:7]
	v_add_f64 v[154:155], v[154:155], v[158:159]
	v_mul_f64 v[158:159], v[108:109], s[18:19]
	v_fma_f64 v[108:109], s[38:39], v[98:99], v[110:111]
	v_add_f64 v[108:109], v[2:3], v[108:109]
	v_fma_f64 v[160:161], s[40:41], v[48:49], v[158:159]
	v_add_f64 v[108:109], v[160:161], v[108:109]
	v_mul_f64 v[160:161], v[106:107], s[30:31]
	v_fma_f64 v[106:107], s[42:43], v[100:101], v[160:161]
	v_mul_f64 v[116:117], v[116:117], s[20:21]
	v_add_f64 v[106:107], v[106:107], v[108:109]
	v_fma_f64 v[108:109], s[24:25], v[102:103], v[116:117]
	v_mul_f64 v[120:121], v[120:121], s[8:9]
	v_add_f64 v[106:107], v[108:109], v[106:107]
	;; [unrolled: 3-line block ×3, first 2 shown]
	v_fma_f64 v[108:109], s[6:7], v[112:113], v[128:129]
	v_fmac_f64_e32 v[110:111], s[10:11], v[98:99]
	v_fma_f64 v[112:113], v[112:113], s[6:7], -v[128:129]
	v_add_f64 v[108:109], v[0:1], v[108:109]
	v_fmac_f64_e32 v[158:159], s[22:23], v[48:49]
	v_add_f64 v[48:49], v[2:3], v[110:111]
	v_add_f64 v[112:113], v[0:1], v[112:113]
	;; [unrolled: 1-line block ×12, first 2 shown]
	v_mul_f64 v[132:133], v[132:133], s[22:23]
	v_add_f64 v[2:3], v[2:3], v[72:73]
	v_add_f64 v[0:1], v[0:1], v[56:57]
	v_fma_f64 v[162:163], s[18:19], v[114:115], v[132:133]
	v_mul_f64 v[130:131], v[130:131], s[36:37]
	v_add_f64 v[2:3], v[2:3], v[58:59]
	v_add_f64 v[0:1], v[0:1], v[36:37]
	;; [unrolled: 1-line block ×3, first 2 shown]
	v_fma_f64 v[162:163], s[30:31], v[118:119], v[130:131]
	v_mul_f64 v[136:137], v[136:137], s[34:35]
	v_fma_f64 v[110:111], v[114:115], s[18:19], -v[132:133]
	v_add_f64 v[2:3], v[2:3], v[54:55]
	v_add_f64 v[0:1], v[0:1], v[38:39]
	v_add_f64 v[108:109], v[162:163], v[108:109]
	v_fma_f64 v[162:163], s[20:21], v[122:123], v[136:137]
	v_mul_f64 v[138:139], v[138:139], s[28:29]
	v_fmac_f64_e32 v[120:121], s[28:29], v[104:105]
	v_fmac_f64_e32 v[160:161], s[36:37], v[100:101]
	v_add_f64 v[48:49], v[158:159], v[48:49]
	v_fma_f64 v[104:105], v[118:119], s[30:31], -v[130:131]
	v_add_f64 v[110:111], v[110:111], v[112:113]
	v_add_f64 v[2:3], v[2:3], v[76:77]
	;; [unrolled: 1-line block ×4, first 2 shown]
	v_fma_f64 v[150:151], s[6:7], v[126:127], v[178:179]
	v_add_f64 v[108:109], v[162:163], v[108:109]
	v_fma_f64 v[162:163], s[8:9], v[124:125], v[138:139]
	v_mul_f64 v[140:141], v[140:141], s[12:13]
	v_fmac_f64_e32 v[116:117], s[34:35], v[102:103]
	v_add_f64 v[48:49], v[160:161], v[48:49]
	v_fma_f64 v[102:103], v[122:123], s[20:21], -v[136:137]
	v_add_f64 v[104:105], v[104:105], v[110:111]
	v_add_f64 v[2:3], v[2:3], v[80:81]
	;; [unrolled: 1-line block ×3, first 2 shown]
	s_movk_i32 s6, 0x4e0
	v_mov_b32_e32 v37, 4
	v_add_f64 v[162:163], v[162:163], v[108:109]
	v_fma_f64 v[108:109], s[14:15], v[134:135], v[140:141]
	v_mul_f64 v[142:143], v[142:143], s[26:27]
	v_add_f64 v[48:49], v[116:117], v[48:49]
	v_fma_f64 v[100:101], v[124:125], s[8:9], -v[138:139]
	v_add_f64 v[102:103], v[102:103], v[104:105]
	v_add_f64 v[2:3], v[2:3], v[82:83]
	;; [unrolled: 1-line block ×3, first 2 shown]
	v_mad_u32_u24 v36, v67, s6, 0
	v_lshlrev_b32_sdwa v37, v37, v69 dst_sel:DWORD dst_unused:UNUSED_PAD src0_sel:DWORD src1_sel:BYTE_0
	v_add_f64 v[108:109], v[108:109], v[106:107]
	v_fma_f64 v[106:107], s[12:13], v[126:127], v[142:143]
	v_fmac_f64_e32 v[140:141], s[26:27], v[134:135]
	v_add_f64 v[48:49], v[120:121], v[48:49]
	v_fma_f64 v[98:99], v[126:127], s[12:13], -v[142:143]
	v_add_f64 v[102:103], v[100:101], v[102:103]
	v_add_f64 v[2:3], v[2:3], v[84:85]
	;; [unrolled: 1-line block ×3, first 2 shown]
	v_add3_u32 v36, v36, v37, v65
	v_add_f64 v[150:151], v[150:151], v[174:175]
	v_add_f64 v[106:107], v[106:107], v[162:163]
	;; [unrolled: 1-line block ×4, first 2 shown]
	ds_write_b128 v36, v[0:3]
	ds_write_b128 v36, v[98:101] offset:96
	ds_write_b128 v36, v[154:157] offset:192
	;; [unrolled: 1-line block ×12, first 2 shown]
.LBB0_20:
	s_or_b64 exec, exec, s[2:3]
	v_lshlrev_b32_e32 v8, 2, v60
	v_mov_b32_e32 v9, 0
	v_lshl_add_u64 v[0:1], v[8:9], 4, s[4:5]
	s_waitcnt lgkmcnt(0)
	s_barrier
	global_load_dwordx4 v[12:15], v[0:1], off offset:1216
	global_load_dwordx4 v[16:19], v[0:1], off offset:1232
	;; [unrolled: 1-line block ×4, first 2 shown]
	v_lshlrev_b32_e32 v10, 4, v64
	v_add3_u32 v10, 0, v10, v65
	ds_read_b128 v[28:31], v148
	ds_read_b128 v[0:3], v149
	v_add3_u32 v8, 0, v61, v65
	ds_read_b128 v[4:7], v144
	ds_read_b128 v[32:35], v147 offset:6240
	ds_read_b128 v[36:39], v147 offset:7488
	;; [unrolled: 1-line block ×5, first 2 shown]
	ds_read_b128 v[52:55], v10
	ds_read_b128 v[56:59], v8
	s_mov_b32 s6, 0x134454ff
	s_mov_b32 s7, 0x3fee6f0e
	;; [unrolled: 1-line block ×10, first 2 shown]
	v_mov_b32_e32 v61, v9
	s_waitcnt lgkmcnt(0)
	s_barrier
	v_mov_b32_e32 v71, v9
	v_mov_b32_e32 v69, v9
	;; [unrolled: 1-line block ×4, first 2 shown]
	s_waitcnt vmcnt(3)
	v_mul_f64 v[72:73], v[30:31], v[14:15]
	v_mul_f64 v[74:75], v[28:29], v[14:15]
	s_waitcnt vmcnt(2)
	v_mul_f64 v[76:77], v[54:55], v[18:19]
	s_waitcnt vmcnt(1)
	v_mul_f64 v[80:81], v[38:39], v[22:23]
	v_mul_f64 v[82:83], v[36:37], v[22:23]
	s_waitcnt vmcnt(0)
	v_mul_f64 v[84:85], v[46:47], v[26:27]
	v_mul_f64 v[86:87], v[44:45], v[26:27]
	v_mul_f64 v[88:89], v[58:59], v[14:15]
	v_mul_f64 v[90:91], v[56:57], v[14:15]
	v_mul_f64 v[14:15], v[34:35], v[18:19]
	v_fma_f64 v[28:29], v[28:29], v[12:13], -v[72:73]
	v_fmac_f64_e32 v[74:75], v[30:31], v[12:13]
	v_fma_f64 v[30:31], v[52:53], v[16:17], -v[76:77]
	v_fma_f64 v[36:37], v[36:37], v[20:21], -v[80:81]
	v_mul_f64 v[78:79], v[52:53], v[18:19]
	v_mul_f64 v[92:93], v[32:33], v[18:19]
	;; [unrolled: 1-line block ×4, first 2 shown]
	v_fmac_f64_e32 v[82:83], v[38:39], v[20:21]
	v_fma_f64 v[38:39], v[44:45], v[24:25], -v[84:85]
	v_fmac_f64_e32 v[86:87], v[46:47], v[24:25]
	v_fma_f64 v[44:45], v[56:57], v[12:13], -v[88:89]
	;; [unrolled: 2-line block ×3, first 2 shown]
	v_add_f64 v[12:13], v[4:5], v[28:29]
	v_add_f64 v[14:15], v[30:31], v[36:37]
	v_mul_f64 v[22:23], v[50:51], v[26:27]
	v_fmac_f64_e32 v[78:79], v[54:55], v[16:17]
	v_fmac_f64_e32 v[92:93], v[34:35], v[16:17]
	v_fma_f64 v[52:53], v[40:41], v[20:21], -v[18:19]
	v_fmac_f64_e32 v[94:95], v[42:43], v[20:21]
	v_add_f64 v[18:19], v[74:75], -v[86:87]
	v_add_f64 v[16:17], v[28:29], -v[30:31]
	;; [unrolled: 1-line block ×3, first 2 shown]
	v_add_f64 v[34:35], v[12:13], v[30:31]
	v_fma_f64 v[12:13], -0.5, v[14:15], v[4:5]
	v_mul_f64 v[96:97], v[48:49], v[26:27]
	v_fma_f64 v[42:43], v[48:49], v[24:25], -v[22:23]
	v_add_f64 v[22:23], v[78:79], -v[82:83]
	v_add_f64 v[14:15], v[16:17], v[20:21]
	v_fma_f64 v[16:17], s[6:7], v[18:19], v[12:13]
	v_fmac_f64_e32 v[12:13], s[10:11], v[18:19]
	v_fmac_f64_e32 v[96:97], v[50:51], v[24:25]
	v_add_f64 v[24:25], v[28:29], v[38:39]
	v_fmac_f64_e32 v[16:17], s[2:3], v[22:23]
	v_fmac_f64_e32 v[12:13], s[12:13], v[22:23]
	v_fmac_f64_e32 v[4:5], -0.5, v[24:25]
	v_fmac_f64_e32 v[16:17], s[8:9], v[14:15]
	v_fmac_f64_e32 v[12:13], s[8:9], v[14:15]
	v_add_f64 v[14:15], v[6:7], v[74:75]
	v_add_f64 v[26:27], v[30:31], -v[28:29]
	v_add_f64 v[32:33], v[36:37], -v[38:39]
	v_fma_f64 v[20:21], s[10:11], v[22:23], v[4:5]
	v_fmac_f64_e32 v[4:5], s[6:7], v[22:23]
	v_add_f64 v[14:15], v[14:15], v[78:79]
	v_add_f64 v[26:27], v[26:27], v[32:33]
	v_fmac_f64_e32 v[20:21], s[2:3], v[18:19]
	v_fmac_f64_e32 v[4:5], s[12:13], v[18:19]
	v_add_f64 v[14:15], v[14:15], v[82:83]
	v_fmac_f64_e32 v[20:21], s[8:9], v[26:27]
	v_fmac_f64_e32 v[4:5], s[8:9], v[26:27]
	v_add_f64 v[26:27], v[14:15], v[86:87]
	v_add_f64 v[14:15], v[78:79], v[82:83]
	v_fma_f64 v[14:15], -0.5, v[14:15], v[6:7]
	v_add_f64 v[28:29], v[28:29], -v[38:39]
	v_fma_f64 v[18:19], s[10:11], v[28:29], v[14:15]
	v_add_f64 v[30:31], v[30:31], -v[36:37]
	v_add_f64 v[22:23], v[74:75], -v[78:79]
	;; [unrolled: 1-line block ×3, first 2 shown]
	v_fmac_f64_e32 v[14:15], s[6:7], v[28:29]
	v_fmac_f64_e32 v[18:19], s[12:13], v[30:31]
	v_add_f64 v[22:23], v[22:23], v[32:33]
	v_fmac_f64_e32 v[14:15], s[2:3], v[30:31]
	v_fmac_f64_e32 v[18:19], s[8:9], v[22:23]
	;; [unrolled: 1-line block ×3, first 2 shown]
	v_add_f64 v[22:23], v[74:75], v[86:87]
	v_fmac_f64_e32 v[6:7], -0.5, v[22:23]
	v_add_f64 v[24:25], v[34:35], v[36:37]
	v_fma_f64 v[22:23], s[6:7], v[30:31], v[6:7]
	v_add_f64 v[32:33], v[78:79], -v[74:75]
	v_add_f64 v[34:35], v[82:83], -v[86:87]
	v_fmac_f64_e32 v[6:7], s[10:11], v[30:31]
	v_fmac_f64_e32 v[22:23], s[12:13], v[28:29]
	v_add_f64 v[32:33], v[32:33], v[34:35]
	v_fmac_f64_e32 v[6:7], s[2:3], v[28:29]
	v_add_f64 v[30:31], v[46:47], v[52:53]
	v_fmac_f64_e32 v[22:23], s[8:9], v[32:33]
	v_fmac_f64_e32 v[6:7], s[8:9], v[32:33]
	v_fma_f64 v[32:33], -0.5, v[30:31], v[0:1]
	v_add_f64 v[30:31], v[90:91], -v[96:97]
	v_add_f64 v[24:25], v[24:25], v[38:39]
	v_fma_f64 v[36:37], s[6:7], v[30:31], v[32:33]
	v_add_f64 v[34:35], v[92:93], -v[94:95]
	v_add_f64 v[38:39], v[44:45], -v[46:47]
	;; [unrolled: 1-line block ×3, first 2 shown]
	v_fmac_f64_e32 v[32:33], s[10:11], v[30:31]
	v_fmac_f64_e32 v[36:37], s[2:3], v[34:35]
	v_add_f64 v[38:39], v[38:39], v[40:41]
	v_fmac_f64_e32 v[32:33], s[12:13], v[34:35]
	v_fmac_f64_e32 v[36:37], s[8:9], v[38:39]
	;; [unrolled: 1-line block ×3, first 2 shown]
	v_add_f64 v[38:39], v[44:45], v[42:43]
	v_add_f64 v[28:29], v[0:1], v[44:45]
	v_fmac_f64_e32 v[0:1], -0.5, v[38:39]
	v_add_f64 v[28:29], v[28:29], v[46:47]
	v_fma_f64 v[40:41], s[10:11], v[34:35], v[0:1]
	v_add_f64 v[38:39], v[46:47], -v[44:45]
	v_add_f64 v[48:49], v[52:53], -v[42:43]
	v_fmac_f64_e32 v[0:1], s[6:7], v[34:35]
	v_add_f64 v[34:35], v[92:93], v[94:95]
	v_add_f64 v[28:29], v[28:29], v[52:53]
	v_fmac_f64_e32 v[40:41], s[2:3], v[30:31]
	v_add_f64 v[38:39], v[38:39], v[48:49]
	v_fmac_f64_e32 v[0:1], s[12:13], v[30:31]
	v_fma_f64 v[34:35], -0.5, v[34:35], v[2:3]
	v_add_f64 v[44:45], v[44:45], -v[42:43]
	v_add_f64 v[28:29], v[28:29], v[42:43]
	v_fmac_f64_e32 v[40:41], s[8:9], v[38:39]
	v_fmac_f64_e32 v[0:1], s[8:9], v[38:39]
	v_fma_f64 v[38:39], s[10:11], v[44:45], v[34:35]
	v_add_f64 v[46:47], v[46:47], -v[52:53]
	v_add_f64 v[42:43], v[90:91], -v[92:93]
	;; [unrolled: 1-line block ×3, first 2 shown]
	v_fmac_f64_e32 v[34:35], s[6:7], v[44:45]
	v_fmac_f64_e32 v[38:39], s[12:13], v[46:47]
	v_add_f64 v[42:43], v[42:43], v[48:49]
	v_fmac_f64_e32 v[34:35], s[2:3], v[46:47]
	v_fmac_f64_e32 v[38:39], s[8:9], v[42:43]
	;; [unrolled: 1-line block ×3, first 2 shown]
	v_add_f64 v[42:43], v[90:91], v[96:97]
	v_add_f64 v[30:31], v[2:3], v[90:91]
	v_fmac_f64_e32 v[2:3], -0.5, v[42:43]
	v_add_f64 v[30:31], v[30:31], v[92:93]
	v_fma_f64 v[42:43], s[6:7], v[46:47], v[2:3]
	v_add_f64 v[48:49], v[92:93], -v[90:91]
	v_add_f64 v[50:51], v[94:95], -v[96:97]
	v_fmac_f64_e32 v[2:3], s[10:11], v[46:47]
	v_add_f64 v[30:31], v[30:31], v[94:95]
	v_fmac_f64_e32 v[42:43], s[12:13], v[44:45]
	v_add_f64 v[48:49], v[48:49], v[50:51]
	;; [unrolled: 2-line block ×3, first 2 shown]
	v_fmac_f64_e32 v[42:43], s[8:9], v[48:49]
	v_fmac_f64_e32 v[2:3], s[8:9], v[48:49]
	ds_write_b128 v147, v[24:27]
	ds_write_b128 v147, v[16:19] offset:1248
	ds_write_b128 v147, v[20:23] offset:2496
	;; [unrolled: 1-line block ×9, first 2 shown]
	v_lshl_add_u64 v[0:1], v[60:61], 4, s[4:5]
	s_movk_i32 s2, 0x1000
	v_add_co_u32_e32 v12, vcc, s2, v0
	s_waitcnt lgkmcnt(0)
	s_nop 0
	v_addc_co_u32_e32 v13, vcc, 0, v1, vcc
	v_lshl_add_u64 v[0:1], v[70:71], 4, s[4:5]
	v_add_co_u32_e32 v14, vcc, s2, v0
	s_barrier
	s_nop 0
	v_addc_co_u32_e32 v15, vcc, 0, v1, vcc
	global_load_dwordx4 v[0:3], v[12:13], off offset:2112
	global_load_dwordx4 v[4:7], v[14:15], off offset:2112
	v_lshl_add_u64 v[12:13], v[68:69], 4, s[4:5]
	v_add_co_u32_e32 v20, vcc, s2, v12
	s_nop 1
	v_addc_co_u32_e32 v21, vcc, 0, v13, vcc
	v_lshl_add_u64 v[12:13], v[66:67], 4, s[4:5]
	v_add_co_u32_e32 v22, vcc, s2, v12
	s_nop 1
	v_addc_co_u32_e32 v23, vcc, 0, v13, vcc
	global_load_dwordx4 v[12:15], v[20:21], off offset:2112
	global_load_dwordx4 v[16:19], v[22:23], off offset:2112
	v_lshl_add_u64 v[20:21], v[64:65], 4, s[4:5]
	v_add_co_u32_e32 v20, vcc, s2, v20
	s_add_u32 s2, s4, 0x30a0
	s_nop 0
	v_addc_co_u32_e32 v21, vcc, 0, v21, vcc
	global_load_dwordx4 v[20:23], v[20:21], off offset:2112
	ds_read_b128 v[24:27], v144
	ds_read_b128 v[28:31], v147 offset:6240
	ds_read_b128 v[32:35], v149
	ds_read_b128 v[36:39], v148
	ds_read_b128 v[40:43], v147 offset:7488
	ds_read_b128 v[44:47], v147 offset:8736
	ds_read_b128 v[48:51], v8
	ds_read_b128 v[52:55], v10
	ds_read_b128 v[56:59], v147 offset:9984
	ds_read_b128 v[72:75], v147 offset:11232
	s_waitcnt lgkmcnt(0)
	s_barrier
	s_addc_u32 s3, s5, 0
	v_cmp_ne_u32_e32 vcc, 0, v60
	s_waitcnt vmcnt(4)
	v_mul_f64 v[76:77], v[30:31], v[2:3]
	v_mul_f64 v[2:3], v[28:29], v[2:3]
	v_fma_f64 v[76:77], v[28:29], v[0:1], -v[76:77]
	v_fmac_f64_e32 v[2:3], v[30:31], v[0:1]
	s_waitcnt vmcnt(3)
	v_mul_f64 v[0:1], v[42:43], v[6:7]
	v_mul_f64 v[30:31], v[40:41], v[6:7]
	v_fma_f64 v[28:29], v[40:41], v[4:5], -v[0:1]
	v_fmac_f64_e32 v[30:31], v[42:43], v[4:5]
	v_add_f64 v[2:3], v[26:27], -v[2:3]
	v_fma_f64 v[6:7], v[26:27], 2.0, -v[2:3]
	s_waitcnt vmcnt(2)
	v_mul_f64 v[0:1], v[46:47], v[14:15]
	v_mul_f64 v[42:43], v[44:45], v[14:15]
	v_fma_f64 v[40:41], v[44:45], v[12:13], -v[0:1]
	v_fmac_f64_e32 v[42:43], v[46:47], v[12:13]
	s_waitcnt vmcnt(1)
	v_mul_f64 v[0:1], v[58:59], v[18:19]
	v_mul_f64 v[46:47], v[56:57], v[18:19]
	v_fma_f64 v[44:45], v[56:57], v[16:17], -v[0:1]
	v_fmac_f64_e32 v[46:47], v[58:59], v[16:17]
	s_waitcnt vmcnt(0)
	v_mul_f64 v[0:1], v[74:75], v[22:23]
	v_mul_f64 v[58:59], v[72:73], v[22:23]
	v_fma_f64 v[56:57], v[72:73], v[20:21], -v[0:1]
	v_fmac_f64_e32 v[58:59], v[74:75], v[20:21]
	v_add_f64 v[0:1], v[24:25], -v[76:77]
	v_add_f64 v[20:21], v[36:37], -v[40:41]
	;; [unrolled: 1-line block ×3, first 2 shown]
	v_fma_f64 v[4:5], v[24:25], 2.0, -v[0:1]
	v_add_f64 v[12:13], v[32:33], -v[28:29]
	v_add_f64 v[14:15], v[34:35], -v[30:31]
	v_fma_f64 v[24:25], v[36:37], 2.0, -v[20:21]
	v_fma_f64 v[26:27], v[38:39], 2.0, -v[22:23]
	v_add_f64 v[28:29], v[48:49], -v[44:45]
	v_add_f64 v[30:31], v[50:51], -v[46:47]
	;; [unrolled: 1-line block ×4, first 2 shown]
	v_fma_f64 v[16:17], v[32:33], 2.0, -v[12:13]
	v_fma_f64 v[18:19], v[34:35], 2.0, -v[14:15]
	;; [unrolled: 1-line block ×6, first 2 shown]
	ds_write_b128 v147, v[4:7]
	ds_write_b128 v147, v[0:3] offset:6240
	ds_write_b128 v149, v[16:19]
	ds_write_b128 v149, v[12:15] offset:6240
	;; [unrolled: 2-line block ×5, first 2 shown]
	s_waitcnt lgkmcnt(0)
	s_barrier
	ds_read_b128 v[4:7], v144
	v_sub_u32_e32 v12, v145, v146
                                        ; implicit-def: $vgpr0_vgpr1
                                        ; implicit-def: $vgpr8_vgpr9
                                        ; implicit-def: $vgpr10_vgpr11
	s_and_saveexec_b64 s[4:5], vcc
	s_xor_b64 s[4:5], exec, s[4:5]
	s_cbranch_execz .LBB0_22
; %bb.21:
	v_lshl_add_u64 v[0:1], v[60:61], 4, s[2:3]
	global_load_dwordx4 v[14:17], v[0:1], off
	ds_read_b128 v[0:3], v12 offset:12480
	s_waitcnt lgkmcnt(0)
	v_add_f64 v[18:19], v[4:5], v[0:1]
	v_add_f64 v[0:1], v[4:5], -v[0:1]
	v_add_f64 v[8:9], v[6:7], v[2:3]
	v_add_f64 v[2:3], v[6:7], -v[2:3]
	v_mul_f64 v[6:7], v[0:1], 0.5
	v_mul_f64 v[4:5], v[8:9], 0.5
	;; [unrolled: 1-line block ×3, first 2 shown]
	s_waitcnt vmcnt(0)
	v_mul_f64 v[2:3], v[6:7], v[16:17]
	v_fma_f64 v[10:11], v[4:5], v[16:17], v[0:1]
	v_fma_f64 v[16:17], v[4:5], v[16:17], -v[0:1]
	v_fma_f64 v[8:9], 0.5, v[18:19], v[2:3]
	v_fma_f64 v[0:1], v[18:19], 0.5, -v[2:3]
	v_fma_f64 v[10:11], -v[14:15], v[6:7], v[10:11]
	v_fmac_f64_e32 v[8:9], v[4:5], v[14:15]
	v_fma_f64 v[0:1], -v[4:5], v[14:15], v[0:1]
	v_fma_f64 v[2:3], -v[14:15], v[6:7], v[16:17]
                                        ; implicit-def: $vgpr4_vgpr5
.LBB0_22:
	s_andn2_saveexec_b64 s[4:5], s[4:5]
	s_cbranch_execz .LBB0_24
; %bb.23:
	ds_read_b64 v[2:3], v145 offset:6248
	v_mov_b64_e32 v[10:11], 0
	s_waitcnt lgkmcnt(1)
	v_add_f64 v[8:9], v[4:5], v[6:7]
	v_add_f64 v[0:1], v[4:5], -v[6:7]
	s_waitcnt lgkmcnt(0)
	v_xor_b32_e32 v3, 0x80000000, v3
	ds_write_b64 v145, v[2:3] offset:6248
	v_mov_b64_e32 v[2:3], v[10:11]
.LBB0_24:
	s_or_b64 exec, exec, s[4:5]
	s_waitcnt lgkmcnt(0)
	v_lshl_add_u64 v[4:5], v[70:71], 4, s[2:3]
	global_load_dwordx4 v[4:7], v[4:5], off
	v_lshl_add_u64 v[14:15], v[68:69], 4, s[2:3]
	global_load_dwordx4 v[14:17], v[14:15], off
	;; [unrolled: 2-line block ×3, first 2 shown]
	ds_write2_b64 v144, v[8:9], v[10:11] offset1:1
	ds_write_b128 v12, v[0:3] offset:12480
	v_lshl_add_u32 v13, v70, 4, v145
	v_lshl_add_u64 v[22:23], v[64:65], 4, s[2:3]
	ds_read_b128 v[0:3], v13
	ds_read_b128 v[8:11], v12 offset:11232
	global_load_dwordx4 v[22:25], v[22:23], off
	v_lshl_add_u32 v30, v68, 4, v145
	s_waitcnt lgkmcnt(0)
	v_add_f64 v[26:27], v[0:1], v[8:9]
	v_add_f64 v[0:1], v[0:1], -v[8:9]
	v_add_f64 v[28:29], v[2:3], v[10:11]
	v_add_f64 v[2:3], v[2:3], -v[10:11]
	v_mul_f64 v[0:1], v[0:1], 0.5
	v_mul_f64 v[8:9], v[28:29], 0.5
	;; [unrolled: 1-line block ×3, first 2 shown]
	s_waitcnt vmcnt(3)
	v_mul_f64 v[10:11], v[0:1], v[6:7]
	v_fma_f64 v[28:29], v[8:9], v[6:7], v[2:3]
	v_fma_f64 v[2:3], v[8:9], v[6:7], -v[2:3]
	v_fma_f64 v[6:7], 0.5, v[26:27], v[10:11]
	v_fma_f64 v[28:29], -v[4:5], v[0:1], v[28:29]
	v_fma_f64 v[10:11], v[26:27], 0.5, -v[10:11]
	v_fmac_f64_e32 v[6:7], v[8:9], v[4:5]
	v_fma_f64 v[2:3], -v[4:5], v[0:1], v[2:3]
	v_fma_f64 v[0:1], -v[8:9], v[4:5], v[10:11]
	ds_write2_b64 v13, v[6:7], v[28:29] offset1:1
	ds_write_b128 v12, v[0:3] offset:11232
	ds_read_b128 v[0:3], v30
	ds_read_b128 v[4:7], v12 offset:9984
	v_lshl_add_u32 v13, v66, 4, v145
	s_waitcnt lgkmcnt(0)
	v_add_f64 v[8:9], v[0:1], v[4:5]
	v_add_f64 v[0:1], v[0:1], -v[4:5]
	v_add_f64 v[10:11], v[2:3], v[6:7]
	v_add_f64 v[2:3], v[2:3], -v[6:7]
	v_mul_f64 v[0:1], v[0:1], 0.5
	v_mul_f64 v[4:5], v[10:11], 0.5
	;; [unrolled: 1-line block ×3, first 2 shown]
	s_waitcnt vmcnt(2)
	v_mul_f64 v[6:7], v[0:1], v[16:17]
	v_fma_f64 v[10:11], v[4:5], v[16:17], v[2:3]
	v_fma_f64 v[2:3], v[4:5], v[16:17], -v[2:3]
	v_fma_f64 v[16:17], 0.5, v[8:9], v[6:7]
	v_fma_f64 v[10:11], -v[14:15], v[0:1], v[10:11]
	v_fma_f64 v[6:7], v[8:9], 0.5, -v[6:7]
	v_fmac_f64_e32 v[16:17], v[4:5], v[14:15]
	v_fma_f64 v[2:3], -v[14:15], v[0:1], v[2:3]
	v_fma_f64 v[0:1], -v[4:5], v[14:15], v[6:7]
	ds_write2_b64 v30, v[16:17], v[10:11] offset1:1
	ds_write_b128 v12, v[0:3] offset:9984
	ds_read_b128 v[0:3], v13
	ds_read_b128 v[4:7], v12 offset:8736
	v_lshl_add_u32 v16, v64, 4, v145
	s_waitcnt lgkmcnt(0)
	v_add_f64 v[8:9], v[0:1], v[4:5]
	v_add_f64 v[0:1], v[0:1], -v[4:5]
	v_add_f64 v[10:11], v[2:3], v[6:7]
	v_add_f64 v[2:3], v[2:3], -v[6:7]
	v_mul_f64 v[0:1], v[0:1], 0.5
	v_mul_f64 v[4:5], v[10:11], 0.5
	;; [unrolled: 1-line block ×3, first 2 shown]
	s_waitcnt vmcnt(1)
	v_mul_f64 v[6:7], v[0:1], v[20:21]
	v_fma_f64 v[10:11], v[4:5], v[20:21], v[2:3]
	v_fma_f64 v[14:15], 0.5, v[8:9], v[6:7]
	v_fma_f64 v[2:3], v[4:5], v[20:21], -v[2:3]
	v_fma_f64 v[10:11], -v[18:19], v[0:1], v[10:11]
	v_fma_f64 v[6:7], v[8:9], 0.5, -v[6:7]
	v_fmac_f64_e32 v[14:15], v[4:5], v[18:19]
	v_fma_f64 v[2:3], -v[18:19], v[0:1], v[2:3]
	v_fma_f64 v[0:1], -v[4:5], v[18:19], v[6:7]
	ds_write2_b64 v13, v[14:15], v[10:11] offset1:1
	ds_write_b128 v12, v[0:3] offset:8736
	ds_read_b128 v[0:3], v16
	ds_read_b128 v[4:7], v12 offset:7488
	s_waitcnt lgkmcnt(0)
	v_add_f64 v[8:9], v[0:1], v[4:5]
	v_add_f64 v[0:1], v[0:1], -v[4:5]
	v_add_f64 v[10:11], v[2:3], v[6:7]
	v_add_f64 v[2:3], v[2:3], -v[6:7]
	v_mul_f64 v[0:1], v[0:1], 0.5
	v_mul_f64 v[4:5], v[10:11], 0.5
	;; [unrolled: 1-line block ×3, first 2 shown]
	s_waitcnt vmcnt(0)
	v_mul_f64 v[6:7], v[0:1], v[24:25]
	v_fma_f64 v[10:11], v[4:5], v[24:25], v[2:3]
	v_fma_f64 v[14:15], 0.5, v[8:9], v[6:7]
	v_fma_f64 v[2:3], v[4:5], v[24:25], -v[2:3]
	v_fma_f64 v[10:11], -v[22:23], v[0:1], v[10:11]
	v_fma_f64 v[6:7], v[8:9], 0.5, -v[6:7]
	v_fmac_f64_e32 v[14:15], v[4:5], v[22:23]
	v_fma_f64 v[2:3], -v[22:23], v[0:1], v[2:3]
	v_fma_f64 v[0:1], -v[4:5], v[22:23], v[6:7]
	ds_write2_b64 v16, v[14:15], v[10:11] offset1:1
	ds_write_b128 v12, v[0:3] offset:7488
	s_waitcnt lgkmcnt(0)
	s_barrier
	s_and_saveexec_b64 s[2:3], s[0:1]
	s_cbranch_execz .LBB0_27
; %bb.25:
	ds_read_b128 v[0:3], v144
	ds_read_b128 v[4:7], v144 offset:1248
	ds_read_b128 v[8:11], v144 offset:2496
	;; [unrolled: 1-line block ×3, first 2 shown]
	v_lshl_add_u64 v[16:17], v[60:61], 4, v[62:63]
	s_movk_i32 s0, 0x4d
	s_waitcnt lgkmcnt(3)
	global_store_dwordx4 v[16:17], v[0:3], off
	s_waitcnt lgkmcnt(2)
	global_store_dwordx4 v[16:17], v[4:7], off offset:1248
	s_waitcnt lgkmcnt(1)
	global_store_dwordx4 v[16:17], v[8:11], off offset:2496
	;; [unrolled: 2-line block ×3, first 2 shown]
	ds_read_b128 v[0:3], v144 offset:4992
	ds_read_b128 v[4:7], v144 offset:6240
	ds_read_b128 v[8:11], v144 offset:7488
	v_add_co_u32_e32 v12, vcc, 0x1000, v16
	s_nop 1
	v_addc_co_u32_e32 v13, vcc, 0, v17, vcc
	s_waitcnt lgkmcnt(2)
	global_store_dwordx4 v[12:13], v[0:3], off offset:896
	s_waitcnt lgkmcnt(1)
	global_store_dwordx4 v[12:13], v[4:7], off offset:2144
	;; [unrolled: 2-line block ×3, first 2 shown]
	ds_read_b128 v[0:3], v144 offset:8736
	ds_read_b128 v[4:7], v144 offset:9984
	;; [unrolled: 1-line block ×3, first 2 shown]
	v_add_co_u32_e32 v12, vcc, 0x2000, v16
	s_nop 1
	v_addc_co_u32_e32 v13, vcc, 0, v17, vcc
	v_cmp_eq_u32_e32 vcc, s0, v60
	s_waitcnt lgkmcnt(2)
	global_store_dwordx4 v[12:13], v[0:3], off offset:544
	s_waitcnt lgkmcnt(1)
	global_store_dwordx4 v[12:13], v[4:7], off offset:1792
	;; [unrolled: 2-line block ×3, first 2 shown]
	s_and_b64 exec, exec, vcc
	s_cbranch_execz .LBB0_27
; %bb.26:
	ds_read_b128 v[0:3], v144 offset:11248
	v_add_co_u32_e32 v4, vcc, 0x3000, v62
	s_nop 1
	v_addc_co_u32_e32 v5, vcc, 0, v63, vcc
	s_waitcnt lgkmcnt(0)
	global_store_dwordx4 v[4:5], v[0:3], off offset:192
.LBB0_27:
	s_endpgm
	.section	.rodata,"a",@progbits
	.p2align	6, 0x0
	.amdhsa_kernel fft_rtc_fwd_len780_factors_2_3_13_5_2_wgs_234_tpt_78_halfLds_dp_ip_CI_unitstride_sbrr_R2C_dirReg
		.amdhsa_group_segment_fixed_size 0
		.amdhsa_private_segment_fixed_size 0
		.amdhsa_kernarg_size 88
		.amdhsa_user_sgpr_count 2
		.amdhsa_user_sgpr_dispatch_ptr 0
		.amdhsa_user_sgpr_queue_ptr 0
		.amdhsa_user_sgpr_kernarg_segment_ptr 1
		.amdhsa_user_sgpr_dispatch_id 0
		.amdhsa_user_sgpr_kernarg_preload_length 0
		.amdhsa_user_sgpr_kernarg_preload_offset 0
		.amdhsa_user_sgpr_private_segment_size 0
		.amdhsa_uses_dynamic_stack 0
		.amdhsa_enable_private_segment 0
		.amdhsa_system_sgpr_workgroup_id_x 1
		.amdhsa_system_sgpr_workgroup_id_y 0
		.amdhsa_system_sgpr_workgroup_id_z 0
		.amdhsa_system_sgpr_workgroup_info 0
		.amdhsa_system_vgpr_workitem_id 0
		.amdhsa_next_free_vgpr 180
		.amdhsa_next_free_sgpr 44
		.amdhsa_accum_offset 180
		.amdhsa_reserve_vcc 1
		.amdhsa_float_round_mode_32 0
		.amdhsa_float_round_mode_16_64 0
		.amdhsa_float_denorm_mode_32 3
		.amdhsa_float_denorm_mode_16_64 3
		.amdhsa_dx10_clamp 1
		.amdhsa_ieee_mode 1
		.amdhsa_fp16_overflow 0
		.amdhsa_tg_split 0
		.amdhsa_exception_fp_ieee_invalid_op 0
		.amdhsa_exception_fp_denorm_src 0
		.amdhsa_exception_fp_ieee_div_zero 0
		.amdhsa_exception_fp_ieee_overflow 0
		.amdhsa_exception_fp_ieee_underflow 0
		.amdhsa_exception_fp_ieee_inexact 0
		.amdhsa_exception_int_div_zero 0
	.end_amdhsa_kernel
	.text
.Lfunc_end0:
	.size	fft_rtc_fwd_len780_factors_2_3_13_5_2_wgs_234_tpt_78_halfLds_dp_ip_CI_unitstride_sbrr_R2C_dirReg, .Lfunc_end0-fft_rtc_fwd_len780_factors_2_3_13_5_2_wgs_234_tpt_78_halfLds_dp_ip_CI_unitstride_sbrr_R2C_dirReg
                                        ; -- End function
	.section	.AMDGPU.csdata,"",@progbits
; Kernel info:
; codeLenInByte = 10496
; NumSgprs: 50
; NumVgprs: 180
; NumAgprs: 0
; TotalNumVgprs: 180
; ScratchSize: 0
; MemoryBound: 0
; FloatMode: 240
; IeeeMode: 1
; LDSByteSize: 0 bytes/workgroup (compile time only)
; SGPRBlocks: 6
; VGPRBlocks: 22
; NumSGPRsForWavesPerEU: 50
; NumVGPRsForWavesPerEU: 180
; AccumOffset: 180
; Occupancy: 2
; WaveLimiterHint : 1
; COMPUTE_PGM_RSRC2:SCRATCH_EN: 0
; COMPUTE_PGM_RSRC2:USER_SGPR: 2
; COMPUTE_PGM_RSRC2:TRAP_HANDLER: 0
; COMPUTE_PGM_RSRC2:TGID_X_EN: 1
; COMPUTE_PGM_RSRC2:TGID_Y_EN: 0
; COMPUTE_PGM_RSRC2:TGID_Z_EN: 0
; COMPUTE_PGM_RSRC2:TIDIG_COMP_CNT: 0
; COMPUTE_PGM_RSRC3_GFX90A:ACCUM_OFFSET: 44
; COMPUTE_PGM_RSRC3_GFX90A:TG_SPLIT: 0
	.text
	.p2alignl 6, 3212836864
	.fill 256, 4, 3212836864
	.type	__hip_cuid_e46804d0d5019370,@object ; @__hip_cuid_e46804d0d5019370
	.section	.bss,"aw",@nobits
	.globl	__hip_cuid_e46804d0d5019370
__hip_cuid_e46804d0d5019370:
	.byte	0                               ; 0x0
	.size	__hip_cuid_e46804d0d5019370, 1

	.ident	"AMD clang version 19.0.0git (https://github.com/RadeonOpenCompute/llvm-project roc-6.4.0 25133 c7fe45cf4b819c5991fe208aaa96edf142730f1d)"
	.section	".note.GNU-stack","",@progbits
	.addrsig
	.addrsig_sym __hip_cuid_e46804d0d5019370
	.amdgpu_metadata
---
amdhsa.kernels:
  - .agpr_count:     0
    .args:
      - .actual_access:  read_only
        .address_space:  global
        .offset:         0
        .size:           8
        .value_kind:     global_buffer
      - .offset:         8
        .size:           8
        .value_kind:     by_value
      - .actual_access:  read_only
        .address_space:  global
        .offset:         16
        .size:           8
        .value_kind:     global_buffer
      - .actual_access:  read_only
        .address_space:  global
        .offset:         24
        .size:           8
        .value_kind:     global_buffer
      - .offset:         32
        .size:           8
        .value_kind:     by_value
      - .actual_access:  read_only
        .address_space:  global
        .offset:         40
        .size:           8
        .value_kind:     global_buffer
      - .actual_access:  read_only
        .address_space:  global
        .offset:         48
        .size:           8
        .value_kind:     global_buffer
      - .offset:         56
        .size:           4
        .value_kind:     by_value
      - .actual_access:  read_only
        .address_space:  global
        .offset:         64
        .size:           8
        .value_kind:     global_buffer
      - .actual_access:  read_only
        .address_space:  global
        .offset:         72
        .size:           8
        .value_kind:     global_buffer
      - .address_space:  global
        .offset:         80
        .size:           8
        .value_kind:     global_buffer
    .group_segment_fixed_size: 0
    .kernarg_segment_align: 8
    .kernarg_segment_size: 88
    .language:       OpenCL C
    .language_version:
      - 2
      - 0
    .max_flat_workgroup_size: 234
    .name:           fft_rtc_fwd_len780_factors_2_3_13_5_2_wgs_234_tpt_78_halfLds_dp_ip_CI_unitstride_sbrr_R2C_dirReg
    .private_segment_fixed_size: 0
    .sgpr_count:     50
    .sgpr_spill_count: 0
    .symbol:         fft_rtc_fwd_len780_factors_2_3_13_5_2_wgs_234_tpt_78_halfLds_dp_ip_CI_unitstride_sbrr_R2C_dirReg.kd
    .uniform_work_group_size: 1
    .uses_dynamic_stack: false
    .vgpr_count:     180
    .vgpr_spill_count: 0
    .wavefront_size: 64
amdhsa.target:   amdgcn-amd-amdhsa--gfx950
amdhsa.version:
  - 1
  - 2
...

	.end_amdgpu_metadata
